;; amdgpu-corpus repo=ROCm/rocFFT kind=compiled arch=gfx906 opt=O3
	.text
	.amdgcn_target "amdgcn-amd-amdhsa--gfx906"
	.amdhsa_code_object_version 6
	.protected	bluestein_single_fwd_len594_dim1_sp_op_CI_CI ; -- Begin function bluestein_single_fwd_len594_dim1_sp_op_CI_CI
	.globl	bluestein_single_fwd_len594_dim1_sp_op_CI_CI
	.p2align	8
	.type	bluestein_single_fwd_len594_dim1_sp_op_CI_CI,@function
bluestein_single_fwd_len594_dim1_sp_op_CI_CI: ; @bluestein_single_fwd_len594_dim1_sp_op_CI_CI
; %bb.0:
	s_load_dwordx4 s[0:3], s[4:5], 0x28
	v_mul_u32_u24_e32 v1, 0x296, v0
	v_add_u32_sdwa v44, s6, v1 dst_sel:DWORD dst_unused:UNUSED_PAD src0_sel:DWORD src1_sel:WORD_1
	v_mov_b32_e32 v45, 0
	s_waitcnt lgkmcnt(0)
	v_cmp_gt_u64_e32 vcc, s[0:1], v[44:45]
	s_and_saveexec_b64 s[0:1], vcc
	s_cbranch_execz .LBB0_15
; %bb.1:
	s_load_dwordx2 s[8:9], s[4:5], 0x0
	s_load_dwordx2 s[10:11], s[4:5], 0x38
	s_movk_i32 s0, 0x63
	v_mul_lo_u16_sdwa v1, v1, s0 dst_sel:DWORD dst_unused:UNUSED_PAD src0_sel:WORD_1 src1_sel:DWORD
	v_sub_u16_e32 v50, v0, v1
	v_cmp_gt_u16_e64 s[0:1], 54, v50
	v_lshlrev_b32_e32 v49, 3, v50
	s_and_saveexec_b64 s[6:7], s[0:1]
	s_cbranch_execz .LBB0_3
; %bb.2:
	s_load_dwordx2 s[12:13], s[4:5], 0x18
	s_waitcnt lgkmcnt(0)
	s_load_dwordx4 s[12:15], s[12:13], 0x0
	s_waitcnt lgkmcnt(0)
	v_mad_u64_u32 v[0:1], s[16:17], s14, v44, 0
	v_mad_u64_u32 v[2:3], s[16:17], s12, v50, 0
	;; [unrolled: 1-line block ×4, first 2 shown]
	v_mov_b32_e32 v1, v4
	v_lshlrev_b64 v[0:1], 3, v[0:1]
	v_mov_b32_e32 v3, v5
	v_mov_b32_e32 v6, s3
	v_lshlrev_b64 v[2:3], 3, v[2:3]
	v_add_co_u32_e32 v0, vcc, s2, v0
	v_addc_co_u32_e32 v1, vcc, v6, v1, vcc
	v_add_co_u32_e32 v0, vcc, v0, v2
	s_mul_i32 s2, s13, 0x1b0
	s_mul_hi_u32 s3, s12, 0x1b0
	v_addc_co_u32_e32 v1, vcc, v1, v3, vcc
	s_add_i32 s3, s3, s2
	s_mul_i32 s2, s12, 0x1b0
	v_mov_b32_e32 v3, s3
	v_add_co_u32_e32 v2, vcc, s2, v0
	v_addc_co_u32_e32 v3, vcc, v1, v3, vcc
	v_mov_b32_e32 v5, s3
	v_add_co_u32_e32 v4, vcc, s2, v2
	v_addc_co_u32_e32 v5, vcc, v3, v5, vcc
	;; [unrolled: 3-line block ×3, first 2 shown]
	global_load_dwordx2 v[6:7], v49, s[8:9]
	global_load_dwordx2 v[8:9], v49, s[8:9] offset:432
	global_load_dwordx2 v[10:11], v49, s[8:9] offset:864
	global_load_dwordx2 v[14:15], v[0:1], off
	global_load_dwordx2 v[16:17], v[2:3], off
	;; [unrolled: 1-line block ×4, first 2 shown]
	v_mov_b32_e32 v1, s3
	v_add_co_u32_e32 v0, vcc, s2, v12
	v_addc_co_u32_e32 v1, vcc, v13, v1, vcc
	v_mov_b32_e32 v4, s9
	v_add_co_u32_e32 v5, vcc, s8, v49
	v_addc_co_u32_e32 v12, vcc, 0, v4, vcc
	v_add_co_u32_e32 v4, vcc, 0x1000, v5
	v_addc_co_u32_e32 v5, vcc, 0, v12, vcc
	global_load_dwordx2 v[2:3], v[0:1], off
	global_load_dwordx2 v[12:13], v[4:5], off offset:224
	global_load_dwordx2 v[22:23], v49, s[8:9] offset:1296
	global_load_dwordx2 v[24:25], v49, s[8:9] offset:1728
	;; [unrolled: 1-line block ×4, first 2 shown]
	v_mov_b32_e32 v4, s3
	v_add_co_u32_e32 v0, vcc, s2, v0
	v_addc_co_u32_e32 v1, vcc, v1, v4, vcc
	v_mov_b32_e32 v5, s3
	v_add_co_u32_e32 v4, vcc, s2, v0
	v_addc_co_u32_e32 v5, vcc, v1, v5, vcc
	v_mov_b32_e32 v34, s3
	global_load_dwordx2 v[30:31], v[0:1], off
	global_load_dwordx2 v[32:33], v[4:5], off
	v_add_co_u32_e32 v0, vcc, s2, v4
	v_addc_co_u32_e32 v1, vcc, v5, v34, vcc
	global_load_dwordx2 v[4:5], v[0:1], off
	v_add_co_u32_e32 v0, vcc, s2, v0
	v_addc_co_u32_e32 v1, vcc, v1, v34, vcc
	global_load_dwordx2 v[34:35], v49, s[8:9] offset:3024
	global_load_dwordx2 v[36:37], v[0:1], off
	global_load_dwordx2 v[38:39], v49, s[8:9] offset:3456
	v_mov_b32_e32 v40, s3
	v_add_co_u32_e32 v0, vcc, s2, v0
	v_addc_co_u32_e32 v1, vcc, v1, v40, vcc
	global_load_dwordx2 v[40:41], v[0:1], off
	v_mov_b32_e32 v45, s3
	global_load_dwordx2 v[42:43], v49, s[8:9] offset:3888
	v_add_co_u32_e32 v0, vcc, s2, v0
	v_addc_co_u32_e32 v1, vcc, v1, v45, vcc
	global_load_dwordx2 v[0:1], v[0:1], off
	s_waitcnt vmcnt(18)
	v_mul_f32_e32 v45, v15, v7
	v_mul_f32_e32 v7, v14, v7
	v_fmac_f32_e32 v45, v14, v6
	v_fma_f32 v46, v15, v6, -v7
	s_waitcnt vmcnt(17)
	v_mul_f32_e32 v6, v16, v9
	v_fma_f32 v7, v17, v8, -v6
	v_mul_f32_e32 v6, v17, v9
	v_fmac_f32_e32 v6, v16, v8
	ds_write2_b64 v49, v[45:46], v[6:7] offset1:54
	s_waitcnt vmcnt(16)
	v_mul_f32_e32 v6, v19, v11
	v_mul_f32_e32 v7, v18, v11
	v_fmac_f32_e32 v6, v18, v10
	v_fma_f32 v7, v19, v10, -v7
	s_waitcnt vmcnt(12)
	v_mul_f32_e32 v8, v21, v23
	v_mul_f32_e32 v9, v20, v23
	s_waitcnt vmcnt(11)
	v_mul_f32_e32 v10, v3, v25
	v_mul_f32_e32 v11, v2, v25
	v_fmac_f32_e32 v10, v2, v24
	v_fmac_f32_e32 v8, v20, v22
	v_fma_f32 v9, v21, v22, -v9
	v_fma_f32 v11, v3, v24, -v11
	ds_write2_b64 v49, v[6:7], v[8:9] offset0:108 offset1:162
	v_add_u32_e32 v6, 0x400, v49
	v_add_u32_e32 v8, 0x800, v49
	s_waitcnt vmcnt(8)
	v_mul_f32_e32 v2, v30, v27
	v_fma_f32 v3, v31, v26, -v2
	v_mul_f32_e32 v2, v31, v27
	v_fmac_f32_e32 v2, v30, v26
	ds_write2_b64 v6, v[10:11], v[2:3] offset0:88 offset1:142
	s_waitcnt vmcnt(7)
	v_mul_f32_e32 v2, v33, v29
	v_mul_f32_e32 v3, v32, v29
	v_fmac_f32_e32 v2, v32, v28
	v_fma_f32 v3, v33, v28, -v3
	s_waitcnt vmcnt(5)
	v_mul_f32_e32 v6, v5, v35
	v_fmac_f32_e32 v6, v4, v34
	v_mul_f32_e32 v4, v4, v35
	v_fma_f32 v7, v5, v34, -v4
	ds_write2_b64 v8, v[2:3], v[6:7] offset0:68 offset1:122
	s_waitcnt vmcnt(3)
	v_mul_f32_e32 v2, v37, v39
	v_mul_f32_e32 v3, v36, v39
	v_fmac_f32_e32 v2, v36, v38
	v_fma_f32 v3, v37, v38, -v3
	s_waitcnt vmcnt(1)
	v_mul_f32_e32 v4, v41, v43
	v_mul_f32_e32 v5, v40, v43
	v_fmac_f32_e32 v4, v40, v42
	v_fma_f32 v5, v41, v42, -v5
	ds_write2_b64 v8, v[2:3], v[4:5] offset0:176 offset1:230
	s_waitcnt vmcnt(0)
	v_mul_f32_e32 v2, v1, v13
	v_fmac_f32_e32 v2, v0, v12
	v_mul_f32_e32 v0, v0, v13
	v_fma_f32 v3, v1, v12, -v0
	ds_write_b64 v49, v[2:3] offset:4320
.LBB0_3:
	s_or_b64 exec, exec, s[6:7]
	s_load_dwordx2 s[6:7], s[4:5], 0x20
	s_load_dwordx2 s[2:3], s[4:5], 0x8
	v_mov_b32_e32 v8, 0
	v_mov_b32_e32 v9, 0
	s_waitcnt lgkmcnt(0)
	s_barrier
	s_waitcnt lgkmcnt(0)
                                        ; implicit-def: $vgpr12
                                        ; implicit-def: $vgpr24
                                        ; implicit-def: $vgpr28
                                        ; implicit-def: $vgpr22
                                        ; implicit-def: $vgpr18
	s_and_saveexec_b64 s[4:5], s[0:1]
	s_cbranch_execz .LBB0_5
; %bb.4:
	v_add_u32_e32 v0, 0x400, v49
	ds_read2_b64 v[8:11], v49 offset1:54
	ds_read2_b64 v[16:19], v49 offset0:108 offset1:162
	ds_read2_b64 v[20:23], v0 offset0:88 offset1:142
	v_add_u32_e32 v0, 0x800, v49
	ds_read2_b64 v[12:15], v0 offset0:68 offset1:122
	ds_read2_b64 v[24:27], v0 offset0:176 offset1:230
	ds_read_b64 v[28:29], v49 offset:4320
.LBB0_5:
	s_or_b64 exec, exec, s[4:5]
	s_waitcnt lgkmcnt(0)
	v_sub_f32_e32 v4, v11, v29
	v_mul_f32_e32 v30, 0xbf0a6770, v4
	v_sub_f32_e32 v5, v17, v27
	v_add_f32_e32 v37, v28, v10
	v_mov_b32_e32 v0, v30
	v_mul_f32_e32 v31, 0xbf68dda4, v5
	v_fmac_f32_e32 v0, 0x3f575c64, v37
	v_add_f32_e32 v41, v26, v16
	v_mov_b32_e32 v1, v31
	v_sub_f32_e32 v52, v10, v28
	v_add_f32_e32 v38, v29, v11
	v_add_f32_e32 v0, v0, v8
	v_fmac_f32_e32 v1, 0x3ed4b147, v41
	s_mov_b32 s5, 0x3f575c64
	v_mul_f32_e32 v32, 0xbf0a6770, v52
	v_sub_f32_e32 v91, v16, v26
	v_add_f32_e32 v0, v1, v0
	v_fma_f32 v1, v38, s5, -v32
	s_mov_b32 s4, 0x3ed4b147
	v_add_f32_e32 v43, v27, v17
	v_mul_f32_e32 v33, 0xbf68dda4, v91
	v_sub_f32_e32 v88, v19, v25
	v_add_f32_e32 v1, v1, v9
	v_fma_f32 v2, v43, s4, -v33
	v_mul_f32_e32 v34, 0xbf7d64f0, v88
	v_add_f32_e32 v1, v2, v1
	v_add_f32_e32 v51, v24, v18
	v_mov_b32_e32 v2, v34
	v_sub_f32_e32 v92, v18, v24
	v_fmac_f32_e32 v2, 0xbe11bafb, v51
	s_mov_b32 s12, 0xbe11bafb
	v_add_f32_e32 v55, v25, v19
	v_mul_f32_e32 v35, 0xbf7d64f0, v92
	v_sub_f32_e32 v89, v21, v15
	v_add_f32_e32 v0, v2, v0
	v_fma_f32 v2, v55, s12, -v35
	v_mul_f32_e32 v36, 0xbf4178ce, v89
	v_add_f32_e32 v1, v2, v1
	v_add_f32_e32 v60, v14, v20
	v_mov_b32_e32 v2, v36
	v_sub_f32_e32 v96, v20, v14
	v_fmac_f32_e32 v2, 0xbf27a4f4, v60
	s_mov_b32 s13, 0xbf27a4f4
	v_add_f32_e32 v63, v15, v21
	v_mul_f32_e32 v39, 0xbf4178ce, v96
	v_sub_f32_e32 v90, v23, v13
	v_add_f32_e32 v0, v2, v0
	v_fma_f32 v2, v63, s13, -v39
	v_mul_f32_e32 v40, 0xbe903f40, v90
	v_add_f32_e32 v1, v2, v1
	v_add_f32_e32 v64, v12, v22
	v_mov_b32_e32 v2, v40
	v_sub_f32_e32 v97, v22, v12
	s_mov_b32 s14, 0xbf75a155
	v_fmac_f32_e32 v2, 0xbf75a155, v64
	v_add_f32_e32 v66, v13, v23
	v_mul_f32_e32 v42, 0xbe903f40, v97
	v_add_f32_e32 v45, v2, v0
	v_fma_f32 v0, v66, s14, -v42
	v_mul_f32_e32 v47, 0xbf68dda4, v4
	v_add_f32_e32 v46, v0, v1
	v_mov_b32_e32 v0, v47
	v_mul_f32_e32 v48, 0xbf4178ce, v5
	v_fmac_f32_e32 v0, 0x3ed4b147, v37
	v_mov_b32_e32 v1, v48
	v_add_f32_e32 v0, v0, v8
	v_fmac_f32_e32 v1, 0xbf27a4f4, v41
	v_mul_f32_e32 v56, 0xbf68dda4, v52
	v_add_f32_e32 v0, v1, v0
	v_fma_f32 v1, v38, s4, -v56
	v_mul_f32_e32 v57, 0xbf4178ce, v91
	v_add_f32_e32 v1, v1, v9
	v_fma_f32 v2, v43, s13, -v57
	v_mul_f32_e32 v53, 0x3e903f40, v88
	v_add_f32_e32 v1, v2, v1
	v_mov_b32_e32 v2, v53
	v_fmac_f32_e32 v2, 0xbf75a155, v51
	v_mul_f32_e32 v59, 0x3e903f40, v92
	v_add_f32_e32 v0, v2, v0
	v_fma_f32 v2, v55, s14, -v59
	v_mul_f32_e32 v54, 0x3f7d64f0, v89
	v_add_f32_e32 v1, v2, v1
	v_mov_b32_e32 v2, v54
	v_fmac_f32_e32 v2, 0xbe11bafb, v60
	v_mul_f32_e32 v61, 0x3f7d64f0, v96
	v_add_f32_e32 v0, v2, v0
	v_fma_f32 v2, v63, s12, -v61
	v_mul_f32_e32 v58, 0x3f0a6770, v90
	v_add_f32_e32 v1, v2, v1
	v_mov_b32_e32 v2, v58
	v_fmac_f32_e32 v2, 0x3f575c64, v64
	v_mul_f32_e32 v62, 0x3f0a6770, v97
	v_mul_f32_e32 v65, 0xbf7d64f0, v4
	v_fma_f32 v3, v66, s5, -v62
	v_add_f32_e32 v2, v2, v0
	v_mov_b32_e32 v0, v65
	v_mul_f32_e32 v67, 0x3e903f40, v5
	v_add_f32_e32 v3, v3, v1
	v_fmac_f32_e32 v0, 0xbe11bafb, v37
	v_mov_b32_e32 v1, v67
	v_add_f32_e32 v0, v0, v8
	v_fmac_f32_e32 v1, 0xbf75a155, v41
	v_mul_f32_e32 v68, 0x3f68dda4, v88
	v_add_f32_e32 v0, v1, v0
	v_mov_b32_e32 v1, v68
	v_fmac_f32_e32 v1, 0x3ed4b147, v51
	v_mul_f32_e32 v69, 0xbf0a6770, v89
	v_add_f32_e32 v0, v1, v0
	v_mov_b32_e32 v1, v69
	;; [unrolled: 4-line block ×3, first 2 shown]
	v_fmac_f32_e32 v1, 0xbf27a4f4, v64
	v_mul_f32_e32 v71, 0xbf7d64f0, v52
	v_add_f32_e32 v0, v1, v0
	v_fma_f32 v1, v38, s12, -v71
	v_mul_f32_e32 v72, 0x3e903f40, v91
	v_add_f32_e32 v1, v1, v9
	v_fma_f32 v6, v43, s14, -v72
	;; [unrolled: 3-line block ×5, first 2 shown]
	v_mul_f32_e32 v76, 0xbf4178ce, v4
	v_add_f32_e32 v1, v6, v1
	v_mov_b32_e32 v6, v76
	v_mul_f32_e32 v77, 0x3f7d64f0, v5
	v_fmac_f32_e32 v6, 0xbf27a4f4, v37
	v_mov_b32_e32 v7, v77
	v_add_f32_e32 v6, v6, v8
	v_fmac_f32_e32 v7, 0xbe11bafb, v41
	v_mul_f32_e32 v80, 0xbf4178ce, v52
	v_add_f32_e32 v6, v7, v6
	v_fma_f32 v7, v38, s13, -v80
	v_mul_f32_e32 v81, 0x3f7d64f0, v91
	v_add_f32_e32 v7, v7, v9
	v_fma_f32 v78, v43, s12, -v81
	v_add_f32_e32 v7, v78, v7
	v_mul_f32_e32 v78, 0xbf0a6770, v88
	v_mov_b32_e32 v79, v78
	v_fmac_f32_e32 v79, 0x3f575c64, v51
	v_mul_f32_e32 v83, 0xbf0a6770, v92
	v_add_f32_e32 v6, v79, v6
	v_fma_f32 v79, v55, s5, -v83
	v_add_f32_e32 v7, v79, v7
	v_mul_f32_e32 v79, 0xbe903f40, v89
	v_mov_b32_e32 v82, v79
	v_fmac_f32_e32 v82, 0xbf75a155, v60
	v_mul_f32_e32 v84, 0xbe903f40, v96
	v_add_f32_e32 v6, v82, v6
	v_fma_f32 v82, v63, s14, -v84
	v_add_f32_e32 v7, v82, v7
	v_mul_f32_e32 v82, 0x3f68dda4, v90
	v_mul_f32_e32 v85, 0x3f68dda4, v97
	v_mov_b32_e32 v86, v82
	v_fma_f32 v87, v66, s4, -v85
	v_fmac_f32_e32 v86, 0x3ed4b147, v64
	v_add_f32_e32 v7, v87, v7
	v_mul_f32_e32 v87, 0xbe903f40, v4
	v_add_f32_e32 v6, v86, v6
	v_mov_b32_e32 v4, v87
	v_mul_f32_e32 v86, 0x3f0a6770, v5
	v_fmac_f32_e32 v4, 0xbf75a155, v37
	v_mov_b32_e32 v5, v86
	v_add_f32_e32 v4, v4, v8
	v_fmac_f32_e32 v5, 0x3f575c64, v41
	v_mul_f32_e32 v88, 0xbf4178ce, v88
	v_add_f32_e32 v4, v5, v4
	v_mov_b32_e32 v5, v88
	v_fmac_f32_e32 v5, 0xbf27a4f4, v51
	v_mul_f32_e32 v89, 0x3f68dda4, v89
	v_add_f32_e32 v4, v5, v4
	v_mov_b32_e32 v5, v89
	;; [unrolled: 4-line block ×3, first 2 shown]
	v_fmac_f32_e32 v5, 0xbe11bafb, v64
	v_mul_f32_e32 v95, 0xbe903f40, v52
	v_add_f32_e32 v4, v5, v4
	v_fma_f32 v5, v38, s14, -v95
	v_mul_f32_e32 v94, 0x3f0a6770, v91
	v_add_f32_e32 v5, v5, v9
	v_fma_f32 v52, v43, s5, -v94
	;; [unrolled: 3-line block ×5, first 2 shown]
	v_add_f32_e32 v5, v52, v5
	v_mul_lo_u16_e32 v52, 11, v50
	s_barrier
	s_and_saveexec_b64 s[4:5], s[0:1]
	s_cbranch_execz .LBB0_7
; %bb.6:
	v_mul_f32_e32 v96, 0x3f575c64, v37
	v_mul_f32_e32 v98, 0x3ed4b147, v37
	;; [unrolled: 1-line block ×10, first 2 shown]
	v_sub_f32_e32 v37, v37, v87
	v_mul_f32_e32 v97, 0x3f575c64, v38
	v_mul_f32_e32 v99, 0x3ed4b147, v38
	;; [unrolled: 1-line block ×10, first 2 shown]
	v_add_f32_e32 v37, v37, v8
	v_sub_f32_e32 v41, v41, v86
	v_mul_f32_e32 v105, 0x3ed4b147, v43
	v_mul_f32_e32 v107, 0xbf27a4f4, v43
	;; [unrolled: 1-line block ×17, first 2 shown]
	v_add_f32_e32 v38, v95, v38
	v_mul_f32_e32 v95, 0xbf75a155, v63
	v_mul_f32_e32 v60, 0x3ed4b147, v60
	;; [unrolled: 1-line block ×3, first 2 shown]
	v_add_f32_e32 v37, v41, v37
	v_sub_f32_e32 v41, v51, v88
	v_add_f32_e32 v43, v94, v43
	v_mul_f32_e32 v94, 0xbf75a155, v64
	v_add_f32_e32 v55, v93, v55
	v_mul_f32_e32 v93, 0x3f575c64, v64
	v_add_f32_e32 v63, v92, v63
	v_mul_f32_e32 v92, 0xbf27a4f4, v64
	v_mul_f32_e32 v87, 0x3ed4b147, v64
	v_mul_f32_e32 v64, 0xbe11bafb, v64
	v_add_f32_e32 v37, v41, v37
	v_sub_f32_e32 v41, v60, v89
	v_add_f32_e32 v38, v38, v9
	v_add_f32_e32 v37, v41, v37
	v_sub_f32_e32 v41, v64, v90
	v_add_f32_e32 v38, v43, v38
	v_add_f32_e32 v37, v41, v37
	;; [unrolled: 1-line block ×7, first 2 shown]
	v_mul_f32_e32 v63, 0xbe11bafb, v66
	v_add_f32_e32 v41, v51, v41
	v_add_f32_e32 v51, v83, v119
	v_mul_f32_e32 v43, 0xbf75a155, v66
	v_mul_f32_e32 v55, 0x3f575c64, v66
	v_add_f32_e32 v63, v91, v63
	v_mul_f32_e32 v91, 0xbf27a4f4, v66
	v_mul_f32_e32 v66, 0x3ed4b147, v66
	v_add_f32_e32 v41, v51, v41
	v_add_f32_e32 v51, v84, v95
	;; [unrolled: 1-line block ×5, first 2 shown]
	v_sub_f32_e32 v41, v102, v76
	v_add_f32_e32 v41, v41, v8
	v_sub_f32_e32 v51, v110, v77
	v_add_f32_e32 v41, v51, v41
	v_sub_f32_e32 v51, v118, v78
	v_add_f32_e32 v41, v51, v41
	v_sub_f32_e32 v51, v126, v79
	v_add_f32_e32 v41, v51, v41
	v_sub_f32_e32 v51, v87, v82
	v_add_f32_e32 v38, v63, v38
	v_add_f32_e32 v63, v51, v41
	v_add_f32_e32 v41, v71, v101
	;; [unrolled: 1-line block ×11, first 2 shown]
	v_sub_f32_e32 v41, v100, v65
	v_add_f32_e32 v41, v41, v8
	v_sub_f32_e32 v51, v108, v67
	v_add_f32_e32 v41, v51, v41
	;; [unrolled: 2-line block ×5, first 2 shown]
	v_add_f32_e32 v41, v56, v99
	v_add_f32_e32 v41, v41, v9
	;; [unrolled: 1-line block ×10, first 2 shown]
	v_sub_f32_e32 v41, v98, v47
	v_add_f32_e32 v32, v32, v97
	v_sub_f32_e32 v30, v96, v30
	v_add_f32_e32 v41, v41, v8
	v_add_f32_e32 v32, v32, v9
	;; [unrolled: 1-line block ×14, first 2 shown]
	v_sub_f32_e32 v31, v104, v31
	v_add_f32_e32 v9, v13, v9
	v_add_f32_e32 v8, v12, v8
	v_sub_f32_e32 v47, v106, v48
	v_add_f32_e32 v32, v33, v32
	v_add_f32_e32 v33, v35, v113
	v_add_f32_e32 v30, v31, v30
	v_sub_f32_e32 v31, v112, v34
	v_add_f32_e32 v9, v15, v9
	;; [unrolled: 4-line block ×7, first 2 shown]
	v_add_f32_e32 v31, v31, v30
	v_add_f32_e32 v9, v29, v9
	v_add_f32_e32 v8, v28, v8
	v_lshlrev_b32_e32 v10, 3, v52
	v_add_f32_e32 v54, v47, v41
	ds_write2_b64 v10, v[8:9], v[31:32] offset1:1
	ds_write2_b64 v10, v[54:55], v[65:66] offset0:2 offset1:3
	ds_write2_b64 v10, v[63:64], v[37:38] offset0:4 offset1:5
	;; [unrolled: 1-line block ×4, first 2 shown]
	ds_write_b64 v10, v[45:46] offset:80
.LBB0_7:
	s_or_b64 exec, exec, s[4:5]
	s_movk_i32 s12, 0x75
	v_mul_lo_u16_sdwa v8, v50, s12 dst_sel:DWORD dst_unused:UNUSED_PAD src0_sel:BYTE_0 src1_sel:DWORD
	v_sub_u16_sdwa v9, v50, v8 dst_sel:DWORD dst_unused:UNUSED_PAD src0_sel:DWORD src1_sel:BYTE_1
	v_lshrrev_b16_e32 v9, 1, v9
	v_add_co_u32_e32 v36, vcc, 0x63, v50
	v_and_b32_e32 v9, 0x7f, v9
	v_add_u16_sdwa v8, v9, v8 dst_sel:DWORD dst_unused:UNUSED_PAD src0_sel:DWORD src1_sel:BYTE_1
	v_mul_lo_u16_sdwa v9, v36, s12 dst_sel:DWORD dst_unused:UNUSED_PAD src0_sel:BYTE_0 src1_sel:DWORD
	v_sub_u16_sdwa v10, v36, v9 dst_sel:DWORD dst_unused:UNUSED_PAD src0_sel:DWORD src1_sel:BYTE_1
	v_lshrrev_b16_e32 v28, 3, v8
	v_lshrrev_b16_e32 v10, 1, v10
	v_mul_lo_u16_e32 v8, 11, v28
	v_and_b32_e32 v10, 0x7f, v10
	v_sub_u16_e32 v8, v50, v8
	v_add_u16_sdwa v9, v10, v9 dst_sel:DWORD dst_unused:UNUSED_PAD src0_sel:DWORD src1_sel:BYTE_1
	v_and_b32_e32 v29, 0xff, v8
	v_lshrrev_b16_e32 v30, 3, v9
	v_lshlrev_b32_e32 v8, 4, v29
	v_mul_lo_u16_e32 v9, 11, v30
	s_load_dwordx4 s[4:7], s[6:7], 0x0
	s_waitcnt lgkmcnt(0)
	s_barrier
	global_load_dwordx4 v[12:15], v8, s[2:3]
	v_sub_u16_e32 v8, v36, v9
	v_and_b32_e32 v31, 0xff, v8
	v_lshlrev_b32_e32 v8, 4, v31
	global_load_dwordx4 v[8:11], v8, s[2:3]
	v_mov_b32_e32 v16, 3
	s_movk_i32 s12, 0xf9
	v_lshlrev_b32_sdwa v51, v16, v50 dst_sel:DWORD dst_unused:UNUSED_PAD src0_sel:DWORD src1_sel:WORD_0
	v_mul_lo_u16_sdwa v20, v50, s12 dst_sel:DWORD dst_unused:UNUSED_PAD src0_sel:BYTE_0 src1_sel:DWORD
	v_add_u32_e32 v56, 0x400, v51
	ds_read2_b64 v[16:19], v51 offset1:99
	v_add_u32_e32 v57, 0x800, v51
	v_lshrrev_b16_e32 v37, 13, v20
	ds_read2_b64 v[20:23], v56 offset0:70 offset1:169
	ds_read2_b64 v[24:27], v57 offset0:140 offset1:239
	v_mul_u32_u24_e32 v28, 33, v28
	v_mul_u32_u24_e32 v30, 33, v30
	v_add_lshl_u32 v54, v28, v29, 3
	v_add_lshl_u32 v53, v30, v31, 3
	s_waitcnt vmcnt(0) lgkmcnt(0)
	s_barrier
	v_mul_f32_e32 v28, v21, v13
	v_mul_f32_e32 v29, v20, v13
	;; [unrolled: 1-line block ×8, first 2 shown]
	v_fma_f32 v20, v20, v12, -v28
	v_fmac_f32_e32 v29, v21, v12
	v_fma_f32 v21, v24, v14, -v30
	v_fmac_f32_e32 v31, v25, v14
	;; [unrolled: 2-line block ×4, first 2 shown]
	v_add_f32_e32 v25, v20, v21
	v_add_f32_e32 v27, v29, v31
	v_add_f32_e32 v32, v22, v23
	v_sub_f32_e32 v34, v33, v35
	v_add_f32_e32 v38, v19, v33
	v_add_f32_e32 v33, v33, v35
	;; [unrolled: 1-line block ×3, first 2 shown]
	v_sub_f32_e32 v28, v29, v31
	v_add_f32_e32 v26, v17, v29
	v_sub_f32_e32 v29, v20, v21
	v_add_f32_e32 v30, v18, v22
	v_fma_f32 v16, -0.5, v25, v16
	v_fma_f32 v17, -0.5, v27, v17
	;; [unrolled: 1-line block ×3, first 2 shown]
	v_fmac_f32_e32 v19, -0.5, v33
	v_sub_f32_e32 v39, v22, v23
	v_add_f32_e32 v20, v24, v21
	v_add_f32_e32 v21, v26, v31
	v_mov_b32_e32 v24, v16
	v_fmac_f32_e32 v16, 0xbf5db3d7, v28
	v_mov_b32_e32 v25, v17
	v_fmac_f32_e32 v17, 0x3f5db3d7, v29
	v_mov_b32_e32 v26, v18
	v_mov_b32_e32 v27, v19
	v_add_f32_e32 v22, v30, v23
	v_add_f32_e32 v23, v38, v35
	v_fmac_f32_e32 v18, 0xbf5db3d7, v34
	v_fmac_f32_e32 v19, 0x3f5db3d7, v39
	;; [unrolled: 1-line block ×6, first 2 shown]
	ds_write_b64 v54, v[16:17] offset:176
	ds_write2_b64 v54, v[20:21], v[24:25] offset1:11
	ds_write2_b64 v53, v[22:23], v[26:27] offset1:11
	ds_write_b64 v53, v[18:19] offset:176
	v_mul_lo_u16_e32 v16, 33, v37
	v_sub_u16_e32 v16, v50, v16
	v_and_b32_e32 v38, 0xff, v16
	v_mad_u64_u32 v[24:25], s[12:13], v38, 40, s[2:3]
	s_waitcnt lgkmcnt(0)
	s_barrier
	global_load_dwordx4 v[20:23], v[24:25], off offset:176
	global_load_dwordx4 v[16:19], v[24:25], off offset:192
	global_load_dwordx2 v[47:48], v[24:25], off offset:208
	ds_read2_b64 v[24:27], v51 offset1:99
	ds_read2_b64 v[28:31], v56 offset0:70 offset1:169
	ds_read2_b64 v[32:35], v57 offset0:140 offset1:239
	v_mul_u32_u24_e32 v37, 0xc6, v37
	s_waitcnt vmcnt(0) lgkmcnt(0)
	s_barrier
	v_mul_f32_e32 v39, v27, v21
	v_mul_f32_e32 v40, v26, v21
	;; [unrolled: 1-line block ×10, first 2 shown]
	v_fma_f32 v39, v26, v20, -v39
	v_fmac_f32_e32 v40, v27, v20
	v_fma_f32 v26, v28, v22, -v41
	v_fmac_f32_e32 v42, v29, v22
	;; [unrolled: 2-line block ×5, first 2 shown]
	v_add_f32_e32 v30, v24, v26
	v_add_f32_e32 v31, v26, v28
	v_sub_f32_e32 v32, v42, v59
	v_add_f32_e32 v33, v25, v42
	v_add_f32_e32 v34, v42, v59
	v_add_f32_e32 v41, v27, v29
	v_sub_f32_e32 v42, v55, v61
	v_add_f32_e32 v43, v40, v55
	v_add_f32_e32 v55, v55, v61
	v_sub_f32_e32 v35, v26, v28
	v_add_f32_e32 v26, v39, v27
	v_sub_f32_e32 v58, v27, v29
	v_add_f32_e32 v27, v30, v28
	v_fma_f32 v30, -0.5, v31, v24
	v_fmac_f32_e32 v39, -0.5, v41
	v_fmac_f32_e32 v40, -0.5, v55
	v_add_f32_e32 v28, v33, v59
	v_fma_f32 v31, -0.5, v34, v25
	v_add_f32_e32 v26, v26, v29
	v_add_f32_e32 v29, v43, v61
	v_mov_b32_e32 v34, v30
	v_mov_b32_e32 v33, v39
	v_fmac_f32_e32 v39, 0xbf5db3d7, v42
	v_mov_b32_e32 v43, v40
	v_fmac_f32_e32 v30, 0xbf5db3d7, v32
	;; [unrolled: 2-line block ×3, first 2 shown]
	v_fmac_f32_e32 v34, 0x3f5db3d7, v32
	v_fmac_f32_e32 v33, 0x3f5db3d7, v42
	;; [unrolled: 1-line block ×3, first 2 shown]
	v_mul_f32_e32 v32, -0.5, v39
	v_fmac_f32_e32 v31, 0x3f5db3d7, v35
	v_fmac_f32_e32 v41, 0xbf5db3d7, v35
	v_mul_f32_e32 v35, -0.5, v40
	v_mul_f32_e32 v42, 0x3f5db3d7, v43
	v_fmac_f32_e32 v32, 0x3f5db3d7, v40
	v_mul_f32_e32 v40, 0xbf5db3d7, v33
	v_fmac_f32_e32 v42, 0.5, v33
	v_fmac_f32_e32 v40, 0.5, v43
	v_add_f32_e32 v24, v27, v26
	v_add_f32_e32 v25, v28, v29
	v_sub_f32_e32 v26, v27, v26
	v_sub_f32_e32 v27, v28, v29
	v_fmac_f32_e32 v35, 0xbf5db3d7, v39
	v_add_f32_e32 v28, v30, v32
	v_sub_f32_e32 v30, v30, v32
	v_add_f32_e32 v32, v34, v42
	v_add_f32_e32 v33, v41, v40
	v_add_lshl_u32 v55, v37, v38, 3
	v_add_f32_e32 v29, v31, v35
	v_sub_f32_e32 v31, v31, v35
	v_sub_f32_e32 v34, v34, v42
	;; [unrolled: 1-line block ×3, first 2 shown]
	ds_write2_b64 v55, v[24:25], v[32:33] offset1:33
	ds_write2_b64 v55, v[28:29], v[26:27] offset0:66 offset1:99
	ds_write2_b64 v55, v[34:35], v[30:31] offset0:132 offset1:165
	v_lshlrev_b32_e32 v24, 4, v50
	v_lshlrev_b32_e32 v28, 4, v36
	s_waitcnt lgkmcnt(0)
	s_barrier
	global_load_dwordx4 v[24:27], v24, s[2:3] offset:1496
	s_nop 0
	global_load_dwordx4 v[28:31], v28, s[2:3] offset:1496
	ds_read2_b64 v[32:35], v56 offset0:70 offset1:169
	ds_read2_b64 v[40:43], v57 offset0:140 offset1:239
	ds_read2_b64 v[36:39], v51 offset1:99
	s_waitcnt vmcnt(1) lgkmcnt(2)
	v_mul_f32_e32 v58, v33, v25
	v_mul_f32_e32 v59, v32, v25
	s_waitcnt lgkmcnt(1)
	v_mul_f32_e32 v60, v41, v27
	v_mul_f32_e32 v61, v40, v27
	s_waitcnt vmcnt(0)
	v_mul_f32_e32 v62, v35, v29
	v_mul_f32_e32 v63, v34, v29
	;; [unrolled: 1-line block ×4, first 2 shown]
	v_fma_f32 v32, v32, v24, -v58
	v_fmac_f32_e32 v59, v33, v24
	v_fma_f32 v33, v40, v26, -v60
	v_fmac_f32_e32 v61, v41, v26
	;; [unrolled: 2-line block ×4, first 2 shown]
	s_waitcnt lgkmcnt(0)
	v_add_f32_e32 v40, v36, v32
	v_add_f32_e32 v41, v32, v33
	;; [unrolled: 1-line block ×4, first 2 shown]
	v_sub_f32_e32 v64, v63, v65
	v_add_f32_e32 v66, v39, v63
	v_add_f32_e32 v63, v63, v65
	v_sub_f32_e32 v58, v59, v61
	v_add_f32_e32 v42, v37, v59
	v_sub_f32_e32 v59, v32, v33
	v_add_f32_e32 v60, v38, v34
	v_add_f32_e32 v32, v40, v33
	v_fma_f32 v40, -0.5, v41, v36
	v_fma_f32 v41, -0.5, v43, v37
	;; [unrolled: 1-line block ×3, first 2 shown]
	v_fmac_f32_e32 v39, -0.5, v63
	v_sub_f32_e32 v67, v34, v35
	v_add_f32_e32 v33, v42, v61
	v_add_f32_e32 v42, v60, v35
	v_mov_b32_e32 v34, v40
	v_mov_b32_e32 v35, v41
	;; [unrolled: 1-line block ×4, first 2 shown]
	v_add_f32_e32 v43, v66, v65
	v_fmac_f32_e32 v40, 0xbf5db3d7, v58
	v_fmac_f32_e32 v41, 0x3f5db3d7, v59
	;; [unrolled: 1-line block ×8, first 2 shown]
	ds_write2_b64 v51, v[32:33], v[42:43] offset1:99
	ds_write2_b64 v57, v[40:41], v[38:39] offset0:140 offset1:239
	ds_write2_b64 v56, v[34:35], v[36:37] offset0:70 offset1:169
	s_waitcnt lgkmcnt(0)
	s_barrier
	s_and_saveexec_b64 s[2:3], s[0:1]
	s_cbranch_execz .LBB0_9
; %bb.8:
	v_mov_b32_e32 v56, s9
	v_add_co_u32_e32 v62, vcc, s8, v49
	v_addc_co_u32_e32 v63, vcc, 0, v56, vcc
	v_add_co_u32_e32 v56, vcc, 0x1290, v62
	v_addc_co_u32_e32 v57, vcc, 0, v63, vcc
	;; [unrolled: 2-line block ×3, first 2 shown]
	global_load_dwordx2 v[60:61], v[58:59], off offset:656
	global_load_dwordx2 v[76:77], v[56:57], off offset:432
	;; [unrolled: 1-line block ×9, first 2 shown]
	v_add_co_u32_e32 v58, vcc, 0x2000, v62
	v_addc_co_u32_e32 v59, vcc, 0, v63, vcc
	global_load_dwordx2 v[92:93], v[58:59], off offset:880
	global_load_dwordx2 v[94:95], v[56:57], off offset:3888
	ds_read_b64 v[56:57], v51
	v_add_u32_e32 v99, 0x800, v49
	v_add_u32_e32 v100, 0xc00, v49
	s_waitcnt vmcnt(10) lgkmcnt(0)
	v_mul_f32_e32 v58, v57, v61
	v_mul_f32_e32 v59, v56, v61
	v_fma_f32 v58, v56, v60, -v58
	v_fmac_f32_e32 v59, v57, v60
	ds_write_b64 v51, v[58:59]
	ds_read2_b64 v[56:59], v49 offset0:54 offset1:108
	ds_read2_b64 v[60:63], v49 offset0:162 offset1:216
	;; [unrolled: 1-line block ×5, first 2 shown]
	s_waitcnt vmcnt(9) lgkmcnt(4)
	v_mul_f32_e32 v97, v57, v77
	v_mul_f32_e32 v96, v56, v77
	s_waitcnt vmcnt(8)
	v_mul_f32_e32 v101, v59, v79
	v_mul_f32_e32 v77, v58, v79
	s_waitcnt vmcnt(7) lgkmcnt(3)
	v_mul_f32_e32 v102, v61, v81
	v_mul_f32_e32 v79, v60, v81
	s_waitcnt vmcnt(6)
	v_mul_f32_e32 v103, v63, v83
	v_mul_f32_e32 v81, v62, v83
	s_waitcnt vmcnt(5) lgkmcnt(2)
	v_mul_f32_e32 v104, v65, v85
	v_mul_f32_e32 v83, v64, v85
	s_waitcnt vmcnt(4)
	v_mul_f32_e32 v105, v67, v87
	v_mul_f32_e32 v85, v66, v87
	s_waitcnt vmcnt(3) lgkmcnt(1)
	v_mul_f32_e32 v106, v69, v89
	v_mul_f32_e32 v87, v68, v89
	s_waitcnt vmcnt(2)
	v_mul_f32_e32 v107, v71, v91
	v_mul_f32_e32 v89, v70, v91
	s_waitcnt vmcnt(0) lgkmcnt(0)
	v_mul_f32_e32 v108, v73, v95
	v_mul_f32_e32 v91, v72, v95
	;; [unrolled: 1-line block ×4, first 2 shown]
	v_fma_f32 v95, v56, v76, -v97
	v_fmac_f32_e32 v96, v57, v76
	v_fma_f32 v76, v58, v78, -v101
	v_fmac_f32_e32 v77, v59, v78
	;; [unrolled: 2-line block ×10, first 2 shown]
	ds_write2_b64 v49, v[95:96], v[76:77] offset0:54 offset1:108
	ds_write2_b64 v49, v[78:79], v[80:81] offset0:162 offset1:216
	;; [unrolled: 1-line block ×5, first 2 shown]
.LBB0_9:
	s_or_b64 exec, exec, s[2:3]
	s_waitcnt lgkmcnt(0)
	s_barrier
	s_and_saveexec_b64 s[2:3], s[0:1]
	s_cbranch_execz .LBB0_11
; %bb.10:
	v_add_u32_e32 v0, 0x400, v51
	ds_read2_b64 v[32:35], v51 offset1:54
	ds_read2_b64 v[40:43], v51 offset0:108 offset1:162
	ds_read2_b64 v[36:39], v0 offset0:88 offset1:142
	v_add_u32_e32 v0, 0x800, v51
	ds_read2_b64 v[4:7], v0 offset0:68 offset1:122
	ds_read2_b64 v[0:3], v0 offset0:176 offset1:230
	ds_read_b64 v[45:46], v51 offset:4320
.LBB0_11:
	s_or_b64 exec, exec, s[2:3]
	s_waitcnt lgkmcnt(0)
	s_barrier
	s_and_saveexec_b64 s[2:3], s[0:1]
	s_cbranch_execz .LBB0_13
; %bb.12:
	v_add_f32_e32 v64, v46, v35
	v_mul_f32_e32 v66, 0xbf75a155, v64
	v_add_f32_e32 v65, v3, v41
	v_sub_f32_e32 v67, v34, v45
	v_mov_b32_e32 v56, v66
	v_mul_f32_e32 v68, 0x3f575c64, v65
	v_fmac_f32_e32 v56, 0x3e903f40, v67
	v_sub_f32_e32 v69, v40, v2
	v_mov_b32_e32 v57, v68
	v_add_f32_e32 v70, v1, v43
	v_add_f32_e32 v56, v33, v56
	v_fmac_f32_e32 v57, 0xbf0a6770, v69
	v_mul_f32_e32 v71, 0xbf27a4f4, v70
	v_add_f32_e32 v56, v57, v56
	v_sub_f32_e32 v72, v42, v0
	v_mov_b32_e32 v57, v71
	v_add_f32_e32 v73, v7, v37
	v_fmac_f32_e32 v57, 0x3f4178ce, v72
	v_mul_f32_e32 v74, 0x3ed4b147, v73
	v_add_f32_e32 v56, v57, v56
	v_sub_f32_e32 v75, v36, v6
	v_mov_b32_e32 v57, v74
	;; [unrolled: 6-line block ×3, first 2 shown]
	v_sub_f32_e32 v80, v35, v46
	v_fmac_f32_e32 v57, 0x3f7d64f0, v78
	v_mul_f32_e32 v81, 0xbe903f40, v80
	v_sub_f32_e32 v83, v41, v3
	v_add_f32_e32 v57, v57, v56
	v_add_f32_e32 v79, v45, v34
	v_mov_b32_e32 v56, v81
	v_mul_f32_e32 v84, 0x3f0a6770, v83
	v_fmac_f32_e32 v56, 0xbf75a155, v79
	v_add_f32_e32 v82, v2, v40
	v_mov_b32_e32 v58, v84
	v_sub_f32_e32 v86, v43, v1
	v_add_f32_e32 v56, v32, v56
	v_fmac_f32_e32 v58, 0x3f575c64, v82
	v_mul_f32_e32 v87, 0xbf4178ce, v86
	v_add_f32_e32 v56, v58, v56
	v_add_f32_e32 v85, v0, v42
	v_mov_b32_e32 v58, v87
	v_sub_f32_e32 v89, v37, v7
	v_fmac_f32_e32 v58, 0xbf27a4f4, v85
	v_mul_f32_e32 v90, 0x3f68dda4, v89
	v_add_f32_e32 v56, v58, v56
	v_add_f32_e32 v88, v6, v36
	v_mov_b32_e32 v58, v90
	v_sub_f32_e32 v92, v39, v5
	v_fmac_f32_e32 v58, 0x3ed4b147, v88
	v_mul_f32_e32 v93, 0xbf7d64f0, v92
	v_add_f32_e32 v56, v58, v56
	v_add_f32_e32 v91, v4, v38
	v_mov_b32_e32 v58, v93
	v_fmac_f32_e32 v58, 0xbe11bafb, v91
	v_mul_f32_e32 v94, 0xbf27a4f4, v64
	v_add_f32_e32 v56, v58, v56
	v_mov_b32_e32 v58, v94
	v_mul_f32_e32 v95, 0xbe11bafb, v65
	v_fmac_f32_e32 v58, 0x3f4178ce, v67
	v_mov_b32_e32 v59, v95
	v_add_f32_e32 v58, v33, v58
	v_fmac_f32_e32 v59, 0xbf7d64f0, v69
	v_mul_f32_e32 v96, 0x3f575c64, v70
	v_add_f32_e32 v58, v59, v58
	v_mov_b32_e32 v59, v96
	v_fmac_f32_e32 v59, 0x3f0a6770, v72
	v_mul_f32_e32 v97, 0xbf75a155, v73
	v_add_f32_e32 v58, v59, v58
	v_mov_b32_e32 v59, v97
	;; [unrolled: 4-line block ×4, first 2 shown]
	v_mul_f32_e32 v100, 0x3f7d64f0, v83
	v_fmac_f32_e32 v58, 0xbf27a4f4, v79
	v_mov_b32_e32 v60, v100
	v_add_f32_e32 v58, v32, v58
	v_fmac_f32_e32 v60, 0xbe11bafb, v82
	v_mul_f32_e32 v101, 0xbf0a6770, v86
	v_add_f32_e32 v58, v60, v58
	v_mov_b32_e32 v60, v101
	v_fmac_f32_e32 v60, 0x3f575c64, v85
	v_mul_f32_e32 v102, 0xbe903f40, v89
	v_add_f32_e32 v58, v60, v58
	v_mov_b32_e32 v60, v102
	v_fmac_f32_e32 v60, 0xbf75a155, v88
	v_mul_f32_e32 v103, 0x3f68dda4, v92
	v_add_f32_e32 v58, v60, v58
	v_mov_b32_e32 v60, v103
	v_fmac_f32_e32 v60, 0x3ed4b147, v91
	v_mul_f32_e32 v104, 0xbe11bafb, v64
	v_add_f32_e32 v58, v60, v58
	v_mov_b32_e32 v60, v104
	v_mul_f32_e32 v105, 0xbf75a155, v65
	v_fmac_f32_e32 v60, 0x3f7d64f0, v67
	v_mov_b32_e32 v61, v105
	v_add_f32_e32 v35, v35, v33
	v_add_f32_e32 v60, v33, v60
	v_fmac_f32_e32 v61, 0xbe903f40, v69
	v_mul_f32_e32 v106, 0x3ed4b147, v70
	v_add_f32_e32 v35, v41, v35
	v_add_f32_e32 v60, v61, v60
	v_mov_b32_e32 v61, v106
	v_add_f32_e32 v35, v43, v35
	v_fmac_f32_e32 v61, 0xbf68dda4, v72
	v_mul_f32_e32 v107, 0x3f575c64, v73
	v_add_f32_e32 v35, v37, v35
	v_add_f32_e32 v60, v61, v60
	v_mov_b32_e32 v61, v107
	;; [unrolled: 6-line block ×4, first 2 shown]
	v_mul_f32_e32 v110, 0x3e903f40, v83
	v_add_f32_e32 v1, v3, v1
	v_add_f32_e32 v3, v34, v32
	v_fmac_f32_e32 v60, 0xbe11bafb, v79
	v_mov_b32_e32 v62, v110
	v_add_f32_e32 v3, v40, v3
	v_add_f32_e32 v60, v32, v60
	v_fmac_f32_e32 v62, 0xbf75a155, v82
	v_mul_f32_e32 v111, 0x3f68dda4, v86
	v_add_f32_e32 v3, v42, v3
	v_add_f32_e32 v60, v62, v60
	v_mov_b32_e32 v62, v111
	v_add_f32_e32 v3, v36, v3
	v_fmac_f32_e32 v62, 0x3ed4b147, v85
	v_mul_f32_e32 v112, 0xbf0a6770, v89
	v_add_f32_e32 v3, v38, v3
	v_add_f32_e32 v60, v62, v60
	v_mov_b32_e32 v62, v112
	;; [unrolled: 6-line block ×3, first 2 shown]
	v_add_f32_e32 v0, v0, v3
	v_fmac_f32_e32 v66, 0xbe903f40, v67
	v_fmac_f32_e32 v62, 0xbf27a4f4, v91
	v_mul_f32_e32 v114, 0x3ed4b147, v64
	v_add_f32_e32 v0, v2, v0
	v_add_f32_e32 v2, v33, v66
	v_fmac_f32_e32 v68, 0x3f0a6770, v69
	v_add_f32_e32 v60, v62, v60
	v_mov_b32_e32 v62, v114
	v_mul_f32_e32 v115, 0xbf27a4f4, v65
	v_add_f32_e32 v2, v68, v2
	v_fmac_f32_e32 v71, 0xbf4178ce, v72
	v_fmac_f32_e32 v62, 0x3f68dda4, v67
	v_mov_b32_e32 v63, v115
	v_add_f32_e32 v2, v71, v2
	v_fmac_f32_e32 v74, 0x3f68dda4, v75
	s_mov_b32 s12, 0xbf75a155
	v_add_f32_e32 v62, v33, v62
	v_fmac_f32_e32 v63, 0x3f4178ce, v69
	v_mul_f32_e32 v116, 0xbf75a155, v70
	v_add_f32_e32 v2, v74, v2
	v_fmac_f32_e32 v77, 0xbf7d64f0, v78
	s_mov_b32 s13, 0x3f575c64
	v_add_f32_e32 v62, v63, v62
	v_mov_b32_e32 v63, v116
	v_add_f32_e32 v3, v77, v2
	v_fma_f32 v2, v79, s12, -v81
	s_mov_b32 s14, 0xbf27a4f4
	v_fmac_f32_e32 v63, 0xbe903f40, v72
	v_mul_f32_e32 v117, 0xbe11bafb, v73
	v_add_f32_e32 v2, v32, v2
	v_fma_f32 v4, v82, s13, -v84
	s_mov_b32 s15, 0x3ed4b147
	v_add_f32_e32 v62, v63, v62
	v_mov_b32_e32 v63, v117
	v_add_f32_e32 v2, v4, v2
	v_fma_f32 v4, v85, s14, -v87
	s_mov_b32 s16, 0xbe11bafb
	v_fmac_f32_e32 v63, 0xbf7d64f0, v75
	v_mul_f32_e32 v118, 0x3f575c64, v76
	v_add_f32_e32 v2, v4, v2
	v_fma_f32 v4, v88, s15, -v90
	v_add_f32_e32 v62, v63, v62
	v_mov_b32_e32 v63, v118
	v_add_f32_e32 v2, v4, v2
	v_fma_f32 v4, v91, s16, -v93
	v_fmac_f32_e32 v94, 0xbf4178ce, v67
	v_fmac_f32_e32 v63, 0xbf0a6770, v78
	v_mul_f32_e32 v119, 0xbf68dda4, v80
	v_add_f32_e32 v2, v4, v2
	v_add_f32_e32 v4, v33, v94
	v_fmac_f32_e32 v95, 0x3f7d64f0, v69
	v_add_f32_e32 v63, v63, v62
	v_mov_b32_e32 v62, v119
	v_mul_f32_e32 v120, 0xbf4178ce, v83
	v_add_f32_e32 v4, v95, v4
	v_fmac_f32_e32 v96, 0xbf0a6770, v72
	v_fmac_f32_e32 v62, 0x3ed4b147, v79
	v_mov_b32_e32 v121, v120
	v_add_f32_e32 v4, v96, v4
	v_fmac_f32_e32 v97, 0xbe903f40, v75
	v_add_f32_e32 v62, v32, v62
	v_fmac_f32_e32 v121, 0xbf27a4f4, v82
	v_add_f32_e32 v4, v97, v4
	v_fmac_f32_e32 v98, 0x3f68dda4, v78
	v_add_f32_e32 v62, v121, v62
	v_mul_f32_e32 v121, 0x3e903f40, v86
	v_add_f32_e32 v5, v98, v4
	v_fma_f32 v4, v79, s14, -v99
	v_mov_b32_e32 v122, v121
	v_add_f32_e32 v4, v32, v4
	v_fma_f32 v6, v82, s16, -v100
	v_fmac_f32_e32 v122, 0xbf75a155, v85
	v_add_f32_e32 v4, v6, v4
	v_fma_f32 v6, v85, s13, -v101
	v_add_f32_e32 v62, v122, v62
	v_mul_f32_e32 v122, 0x3f7d64f0, v89
	v_add_f32_e32 v4, v6, v4
	v_fma_f32 v6, v88, s12, -v102
	v_mov_b32_e32 v123, v122
	v_add_f32_e32 v4, v6, v4
	v_fma_f32 v6, v91, s15, -v103
	v_fmac_f32_e32 v104, 0xbf7d64f0, v67
	v_fmac_f32_e32 v123, 0xbe11bafb, v88
	v_add_f32_e32 v4, v6, v4
	v_add_f32_e32 v6, v33, v104
	v_fmac_f32_e32 v105, 0x3e903f40, v69
	v_add_f32_e32 v62, v123, v62
	v_mul_f32_e32 v123, 0x3f0a6770, v92
	v_add_f32_e32 v6, v105, v6
	v_fmac_f32_e32 v106, 0x3f68dda4, v72
	v_mov_b32_e32 v124, v123
	v_add_f32_e32 v6, v106, v6
	v_fmac_f32_e32 v107, 0xbf0a6770, v75
	v_fmac_f32_e32 v124, 0x3f575c64, v91
	v_add_f32_e32 v6, v107, v6
	v_fmac_f32_e32 v108, 0xbf4178ce, v78
	v_add_f32_e32 v62, v124, v62
	v_mul_f32_e32 v124, 0x3f575c64, v64
	v_add_f32_e32 v7, v108, v6
	v_fma_f32 v6, v79, s16, -v109
	v_mov_b32_e32 v64, v124
	v_mul_f32_e32 v125, 0x3ed4b147, v65
	v_add_f32_e32 v6, v32, v6
	v_fma_f32 v34, v82, s12, -v110
	v_fmac_f32_e32 v64, 0x3f0a6770, v67
	v_mov_b32_e32 v65, v125
	v_add_f32_e32 v6, v34, v6
	v_fma_f32 v34, v85, s15, -v111
	v_add_f32_e32 v64, v33, v64
	v_fmac_f32_e32 v65, 0x3f68dda4, v69
	v_mul_f32_e32 v70, 0xbe11bafb, v70
	v_add_f32_e32 v6, v34, v6
	v_fma_f32 v34, v88, s13, -v112
	v_add_f32_e32 v64, v65, v64
	v_mov_b32_e32 v65, v70
	v_add_f32_e32 v6, v34, v6
	v_fma_f32 v34, v91, s14, -v113
	v_fmac_f32_e32 v114, 0xbf68dda4, v67
	v_fmac_f32_e32 v65, 0x3f7d64f0, v72
	v_mul_f32_e32 v73, 0xbf27a4f4, v73
	v_add_f32_e32 v6, v34, v6
	v_add_f32_e32 v34, v33, v114
	v_fmac_f32_e32 v115, 0xbf4178ce, v69
	v_add_f32_e32 v64, v65, v64
	v_mov_b32_e32 v65, v73
	v_add_f32_e32 v34, v115, v34
	v_fmac_f32_e32 v116, 0x3e903f40, v72
	v_fmac_f32_e32 v65, 0x3f4178ce, v75
	v_mul_f32_e32 v76, 0xbf75a155, v76
	v_add_f32_e32 v34, v116, v34
	v_fmac_f32_e32 v117, 0x3f7d64f0, v75
	v_add_f32_e32 v64, v65, v64
	v_mov_b32_e32 v65, v76
	v_add_f32_e32 v34, v117, v34
	v_fmac_f32_e32 v118, 0x3f0a6770, v78
	v_fmac_f32_e32 v65, 0x3e903f40, v78
	v_mul_f32_e32 v80, 0xbf0a6770, v80
	v_add_f32_e32 v35, v118, v34
	v_fma_f32 v34, v79, s15, -v119
	v_add_f32_e32 v65, v65, v64
	v_mov_b32_e32 v64, v80
	v_mul_f32_e32 v83, 0xbf68dda4, v83
	v_add_f32_e32 v34, v32, v34
	v_fma_f32 v36, v82, s14, -v120
	v_fmac_f32_e32 v64, 0x3f575c64, v79
	v_mov_b32_e32 v126, v83
	v_add_f32_e32 v34, v36, v34
	v_fma_f32 v36, v85, s12, -v121
	v_add_f32_e32 v64, v32, v64
	v_fmac_f32_e32 v126, 0x3ed4b147, v82
	v_mul_f32_e32 v86, 0xbf7d64f0, v86
	v_add_f32_e32 v34, v36, v34
	v_fma_f32 v36, v88, s16, -v122
	v_add_f32_e32 v64, v126, v64
	v_mov_b32_e32 v126, v86
	v_add_f32_e32 v34, v36, v34
	v_fma_f32 v36, v91, s13, -v123
	v_fmac_f32_e32 v126, 0xbe11bafb, v85
	v_mul_f32_e32 v89, 0xbf4178ce, v89
	v_add_f32_e32 v34, v36, v34
	v_fma_f32 v36, v79, s13, -v80
	v_add_f32_e32 v64, v126, v64
	v_mov_b32_e32 v126, v89
	v_fmac_f32_e32 v124, 0xbf0a6770, v67
	v_add_f32_e32 v32, v32, v36
	v_fma_f32 v36, v82, s15, -v83
	v_fmac_f32_e32 v126, 0xbf27a4f4, v88
	v_mul_f32_e32 v92, 0xbe903f40, v92
	v_add_f32_e32 v33, v33, v124
	v_fmac_f32_e32 v125, 0xbf68dda4, v69
	v_add_f32_e32 v32, v36, v32
	v_fma_f32 v36, v85, s16, -v86
	v_add_f32_e32 v64, v126, v64
	v_mov_b32_e32 v126, v92
	v_add_f32_e32 v33, v125, v33
	v_fmac_f32_e32 v70, 0xbf7d64f0, v72
	v_add_f32_e32 v32, v36, v32
	v_fma_f32 v36, v88, s14, -v89
	v_fmac_f32_e32 v126, 0xbf75a155, v91
	v_add_f32_e32 v33, v70, v33
	v_fmac_f32_e32 v73, 0xbf4178ce, v75
	v_add_f32_e32 v32, v36, v32
	v_fma_f32 v36, v91, s12, -v92
	v_add_f32_e32 v64, v126, v64
	v_add_f32_e32 v1, v46, v1
	;; [unrolled: 1-line block ×4, first 2 shown]
	v_fmac_f32_e32 v76, 0xbe903f40, v78
	v_add_f32_e32 v32, v36, v32
	v_lshlrev_b32_e32 v36, 3, v52
	v_add_f32_e32 v33, v76, v33
	ds_write2_b64 v36, v[0:1], v[64:65] offset1:1
	ds_write2_b64 v36, v[62:63], v[60:61] offset0:2 offset1:3
	ds_write2_b64 v36, v[58:59], v[56:57] offset0:4 offset1:5
	;; [unrolled: 1-line block ×4, first 2 shown]
	ds_write_b64 v36, v[32:33] offset:80
.LBB0_13:
	s_or_b64 exec, exec, s[2:3]
	v_add_u32_e32 v36, 0x400, v51
	v_add_u32_e32 v37, 0x800, v51
	s_waitcnt lgkmcnt(0)
	s_barrier
	ds_read2_b64 v[0:3], v36 offset0:70 offset1:169
	ds_read2_b64 v[4:7], v51 offset1:99
	ds_read2_b64 v[32:35], v37 offset0:140 offset1:239
	s_waitcnt lgkmcnt(0)
	s_barrier
	v_mul_f32_e32 v38, v13, v1
	v_fmac_f32_e32 v38, v12, v0
	v_mul_f32_e32 v0, v13, v0
	v_mul_f32_e32 v13, v15, v33
	v_fma_f32 v12, v12, v1, -v0
	v_fmac_f32_e32 v13, v14, v32
	v_mul_f32_e32 v0, v15, v32
	v_fma_f32 v14, v14, v33, -v0
	v_mul_f32_e32 v15, v9, v3
	v_mul_f32_e32 v0, v9, v2
	v_add_f32_e32 v1, v38, v13
	v_fmac_f32_e32 v15, v8, v2
	v_fma_f32 v32, v8, v3, -v0
	v_mul_f32_e32 v33, v11, v35
	v_mul_f32_e32 v0, v11, v34
	v_fma_f32 v2, -0.5, v1, v4
	v_add_f32_e32 v3, v12, v14
	v_fmac_f32_e32 v33, v10, v34
	v_fma_f32 v11, v10, v35, -v0
	v_add_f32_e32 v0, v4, v38
	v_sub_f32_e32 v1, v12, v14
	v_mov_b32_e32 v4, v2
	v_fma_f32 v3, -0.5, v3, v5
	v_fmac_f32_e32 v4, 0xbf5db3d7, v1
	v_fmac_f32_e32 v2, 0x3f5db3d7, v1
	v_add_f32_e32 v1, v5, v12
	v_sub_f32_e32 v8, v38, v13
	v_mov_b32_e32 v5, v3
	v_add_f32_e32 v9, v15, v33
	v_fmac_f32_e32 v5, 0x3f5db3d7, v8
	v_fmac_f32_e32 v3, 0xbf5db3d7, v8
	v_add_f32_e32 v8, v6, v15
	v_fma_f32 v6, -0.5, v9, v6
	v_sub_f32_e32 v9, v32, v11
	v_mov_b32_e32 v10, v6
	v_fmac_f32_e32 v10, 0xbf5db3d7, v9
	v_fmac_f32_e32 v6, 0x3f5db3d7, v9
	v_add_f32_e32 v9, v7, v32
	v_add_f32_e32 v9, v9, v11
	;; [unrolled: 1-line block ×3, first 2 shown]
	v_fmac_f32_e32 v7, -0.5, v11
	v_sub_f32_e32 v12, v15, v33
	v_mov_b32_e32 v11, v7
	v_add_f32_e32 v0, v0, v13
	v_add_f32_e32 v1, v1, v14
	;; [unrolled: 1-line block ×3, first 2 shown]
	v_fmac_f32_e32 v11, 0x3f5db3d7, v12
	v_fmac_f32_e32 v7, 0xbf5db3d7, v12
	ds_write2_b64 v54, v[0:1], v[4:5] offset1:11
	ds_write_b64 v54, v[2:3] offset:176
	ds_write2_b64 v53, v[8:9], v[10:11] offset1:11
	ds_write_b64 v53, v[6:7] offset:176
	s_waitcnt lgkmcnt(0)
	s_barrier
	ds_read2_b64 v[0:3], v51 offset1:99
	ds_read2_b64 v[4:7], v36 offset0:70 offset1:169
	ds_read2_b64 v[8:11], v37 offset0:140 offset1:239
	s_waitcnt lgkmcnt(0)
	s_barrier
	v_mul_f32_e32 v12, v21, v3
	v_fmac_f32_e32 v12, v20, v2
	v_mul_f32_e32 v2, v21, v2
	v_fma_f32 v13, v20, v3, -v2
	v_mul_f32_e32 v2, v23, v5
	v_mul_f32_e32 v3, v23, v4
	v_fmac_f32_e32 v2, v22, v4
	v_fma_f32 v3, v22, v5, -v3
	v_mul_f32_e32 v4, v17, v7
	v_mul_f32_e32 v5, v17, v6
	v_fmac_f32_e32 v4, v16, v6
	;; [unrolled: 4-line block ×3, first 2 shown]
	v_fma_f32 v7, v18, v9, -v7
	v_mul_f32_e32 v9, v48, v10
	v_mul_f32_e32 v8, v48, v11
	v_fma_f32 v9, v47, v11, -v9
	v_add_f32_e32 v11, v2, v6
	v_fma_f32 v11, -0.5, v11, v0
	v_fmac_f32_e32 v8, v47, v10
	v_add_f32_e32 v10, v0, v2
	v_sub_f32_e32 v0, v3, v7
	v_mov_b32_e32 v14, v11
	v_fmac_f32_e32 v14, 0xbf5db3d7, v0
	v_fmac_f32_e32 v11, 0x3f5db3d7, v0
	v_add_f32_e32 v0, v1, v3
	v_add_f32_e32 v15, v0, v7
	;; [unrolled: 1-line block ×3, first 2 shown]
	v_fma_f32 v16, -0.5, v0, v1
	v_sub_f32_e32 v0, v2, v6
	v_mov_b32_e32 v17, v16
	v_fmac_f32_e32 v17, 0x3f5db3d7, v0
	v_fmac_f32_e32 v16, 0xbf5db3d7, v0
	v_add_f32_e32 v0, v12, v4
	v_add_f32_e32 v10, v10, v6
	;; [unrolled: 1-line block ×4, first 2 shown]
	v_fmac_f32_e32 v12, -0.5, v0
	v_sub_f32_e32 v0, v5, v9
	v_mov_b32_e32 v3, v12
	v_fmac_f32_e32 v3, 0xbf5db3d7, v0
	v_fmac_f32_e32 v12, 0x3f5db3d7, v0
	v_add_f32_e32 v0, v13, v5
	v_add_f32_e32 v7, v0, v9
	;; [unrolled: 1-line block ×3, first 2 shown]
	v_fmac_f32_e32 v13, -0.5, v0
	v_sub_f32_e32 v0, v4, v8
	v_mov_b32_e32 v5, v13
	v_fmac_f32_e32 v5, 0x3f5db3d7, v0
	v_fmac_f32_e32 v13, 0xbf5db3d7, v0
	v_mul_f32_e32 v8, 0xbf5db3d7, v5
	v_mul_f32_e32 v9, 0xbf5db3d7, v13
	v_mul_f32_e32 v18, 0.5, v5
	v_mul_f32_e32 v13, -0.5, v13
	v_fmac_f32_e32 v8, 0.5, v3
	v_fmac_f32_e32 v9, -0.5, v12
	v_fmac_f32_e32 v18, 0x3f5db3d7, v3
	v_fmac_f32_e32 v13, 0x3f5db3d7, v12
	v_add_f32_e32 v0, v10, v6
	v_add_f32_e32 v2, v14, v8
	;; [unrolled: 1-line block ×6, first 2 shown]
	v_sub_f32_e32 v6, v10, v6
	v_sub_f32_e32 v8, v14, v8
	;; [unrolled: 1-line block ×6, first 2 shown]
	ds_write2_b64 v55, v[0:1], v[2:3] offset1:33
	ds_write2_b64 v55, v[4:5], v[6:7] offset0:66 offset1:99
	ds_write2_b64 v55, v[8:9], v[10:11] offset0:132 offset1:165
	s_waitcnt lgkmcnt(0)
	s_barrier
	ds_read2_b64 v[0:3], v36 offset0:70 offset1:169
	ds_read2_b64 v[4:7], v51 offset1:99
	ds_read2_b64 v[8:11], v37 offset0:140 offset1:239
	s_waitcnt lgkmcnt(2)
	v_mul_f32_e32 v12, v25, v1
	v_fmac_f32_e32 v12, v24, v0
	v_mul_f32_e32 v0, v25, v0
	s_waitcnt lgkmcnt(0)
	v_mul_f32_e32 v14, v27, v9
	v_fma_f32 v13, v24, v1, -v0
	v_fmac_f32_e32 v14, v26, v8
	v_mul_f32_e32 v0, v27, v8
	v_fma_f32 v8, v26, v9, -v0
	v_mul_f32_e32 v15, v29, v3
	v_mul_f32_e32 v0, v29, v2
	v_add_f32_e32 v1, v12, v14
	v_fmac_f32_e32 v15, v28, v2
	v_fma_f32 v16, v28, v3, -v0
	v_mul_f32_e32 v0, v31, v10
	v_fma_f32 v2, -0.5, v1, v4
	v_mul_f32_e32 v17, v31, v11
	v_fma_f32 v11, v30, v11, -v0
	v_add_f32_e32 v0, v4, v12
	v_sub_f32_e32 v1, v13, v8
	v_mov_b32_e32 v4, v2
	v_add_f32_e32 v3, v13, v8
	v_fmac_f32_e32 v17, v30, v10
	v_fmac_f32_e32 v4, 0xbf5db3d7, v1
	;; [unrolled: 1-line block ×3, first 2 shown]
	v_add_f32_e32 v1, v5, v13
	v_fma_f32 v3, -0.5, v3, v5
	v_add_f32_e32 v1, v1, v8
	v_sub_f32_e32 v8, v12, v14
	v_mov_b32_e32 v5, v3
	v_add_f32_e32 v9, v15, v17
	v_fmac_f32_e32 v5, 0x3f5db3d7, v8
	v_fmac_f32_e32 v3, 0xbf5db3d7, v8
	v_add_f32_e32 v8, v6, v15
	v_fma_f32 v6, -0.5, v9, v6
	v_sub_f32_e32 v9, v16, v11
	v_mov_b32_e32 v10, v6
	v_fmac_f32_e32 v10, 0xbf5db3d7, v9
	v_fmac_f32_e32 v6, 0x3f5db3d7, v9
	v_add_f32_e32 v9, v7, v16
	v_add_f32_e32 v9, v9, v11
	;; [unrolled: 1-line block ×3, first 2 shown]
	v_fmac_f32_e32 v7, -0.5, v11
	v_add_f32_e32 v0, v0, v14
	v_add_f32_e32 v8, v8, v17
	v_sub_f32_e32 v12, v15, v17
	v_mov_b32_e32 v11, v7
	v_fmac_f32_e32 v11, 0x3f5db3d7, v12
	v_fmac_f32_e32 v7, 0xbf5db3d7, v12
	ds_write2_b64 v51, v[0:1], v[8:9] offset1:99
	ds_write2_b64 v36, v[4:5], v[10:11] offset0:70 offset1:169
	ds_write2_b64 v37, v[2:3], v[6:7] offset0:140 offset1:239
	s_waitcnt lgkmcnt(0)
	s_barrier
	s_and_b64 exec, exec, s[0:1]
	s_cbranch_execz .LBB0_15
; %bb.14:
	global_load_dwordx2 v[8:9], v49, s[8:9]
	global_load_dwordx2 v[10:11], v49, s[8:9] offset:432
	global_load_dwordx2 v[12:13], v49, s[8:9] offset:864
	;; [unrolled: 1-line block ×3, first 2 shown]
	ds_read_b64 v[18:19], v51
	ds_read2_b64 v[0:3], v49 offset0:54 offset1:108
	ds_read2_b64 v[4:7], v49 offset0:162 offset1:216
	global_load_dwordx2 v[22:23], v49, s[8:9] offset:1728
	global_load_dwordx2 v[24:25], v49, s[8:9] offset:2160
	;; [unrolled: 1-line block ×5, first 2 shown]
	v_mad_u64_u32 v[16:17], s[0:1], s6, v44, 0
	v_mad_u64_u32 v[20:21], s[2:3], s4, v50, 0
	v_mov_b32_e32 v32, s9
	s_mul_i32 s3, s5, 0x1b0
	s_mul_hi_u32 s6, s4, 0x1b0
	v_add_co_u32_e32 v35, vcc, s8, v49
	v_addc_co_u32_e32 v37, vcc, 0, v32, vcc
	s_add_i32 s3, s6, s3
	s_waitcnt lgkmcnt(2)
	v_mad_u64_u32 v[32:33], s[6:7], s7, v44, v[17:18]
	v_mov_b32_e32 v36, s11
	s_mul_i32 s2, s4, 0x1b0
	s_movk_i32 s11, 0x1000
	v_mov_b32_e32 v17, v32
	v_lshlrev_b64 v[16:17], 3, v[16:17]
	s_mov_b32 s0, 0x2b18ff23
	s_mov_b32 s1, 0x3f5b951e
	v_mov_b32_e32 v38, s3
	v_mov_b32_e32 v39, s3
	s_waitcnt vmcnt(8)
	v_mul_f32_e32 v32, v19, v9
	v_mul_f32_e32 v9, v18, v9
	v_fmac_f32_e32 v32, v18, v8
	s_waitcnt vmcnt(4)
	v_mad_u64_u32 v[33:34], s[4:5], s5, v50, v[21:22]
	v_add_co_u32_e32 v34, vcc, s11, v35
	v_addc_co_u32_e32 v35, vcc, 0, v37, vcc
	v_add_co_u32_e32 v16, vcc, s10, v16
	v_mov_b32_e32 v21, v33
	v_addc_co_u32_e32 v17, vcc, v36, v17, vcc
	s_waitcnt lgkmcnt(1)
	v_mul_f32_e32 v33, v1, v11
	v_mul_f32_e32 v11, v0, v11
	;; [unrolled: 1-line block ×4, first 2 shown]
	v_fma_f32 v8, v8, v19, -v9
	s_waitcnt lgkmcnt(0)
	v_mul_f32_e32 v37, v5, v15
	v_mul_f32_e32 v15, v4, v15
	v_fmac_f32_e32 v33, v0, v10
	v_fma_f32 v9, v10, v1, -v11
	v_fmac_f32_e32 v36, v2, v12
	v_fma_f32 v12, v12, v3, -v13
	v_cvt_f64_f32_e32 v[0:1], v32
	v_cvt_f64_f32_e32 v[2:3], v8
	v_fmac_f32_e32 v37, v4, v14
	v_fma_f32 v18, v14, v5, -v15
	v_cvt_f64_f32_e32 v[4:5], v33
	v_cvt_f64_f32_e32 v[8:9], v9
	v_mul_f64 v[0:1], v[0:1], s[0:1]
	v_mul_f64 v[2:3], v[2:3], s[0:1]
	v_mul_f64 v[4:5], v[4:5], s[0:1]
	v_mul_f64 v[8:9], v[8:9], s[0:1]
	v_lshlrev_b64 v[20:21], 3, v[20:21]
	global_load_dwordx2 v[34:35], v[34:35], off offset:224
	v_add_co_u32_e32 v16, vcc, v16, v20
	v_cvt_f32_f64_e32 v0, v[0:1]
	v_cvt_f32_f64_e32 v1, v[2:3]
	;; [unrolled: 1-line block ×4, first 2 shown]
	v_addc_co_u32_e32 v17, vcc, v17, v21, vcc
	v_add_co_u32_e32 v20, vcc, s2, v16
	v_addc_co_u32_e32 v21, vcc, v17, v38, vcc
	global_store_dwordx2 v[16:17], v[0:1], off
	global_store_dwordx2 v[20:21], v[2:3], off
	v_mul_f32_e32 v0, v7, v23
	v_mul_f32_e32 v2, v6, v23
	v_fmac_f32_e32 v0, v6, v22
	v_fma_f32 v2, v22, v7, -v2
	global_load_dwordx2 v[6:7], v49, s[8:9] offset:3888
	v_cvt_f64_f32_e32 v[10:11], v36
	v_cvt_f64_f32_e32 v[12:13], v12
	;; [unrolled: 1-line block ×4, first 2 shown]
	v_mul_f64 v[10:11], v[10:11], s[0:1]
	v_mul_f64 v[12:13], v[12:13], s[0:1]
	;; [unrolled: 1-line block ×4, first 2 shown]
	v_cvt_f64_f32_e32 v[0:1], v0
	v_cvt_f64_f32_e32 v[2:3], v2
	v_add_co_u32_e32 v8, vcc, s2, v20
	v_cvt_f32_f64_e32 v4, v[10:11]
	v_cvt_f32_f64_e32 v5, v[12:13]
	v_addc_co_u32_e32 v9, vcc, v21, v39, vcc
	v_mul_f64 v[10:11], v[0:1], s[0:1]
	global_store_dwordx2 v[8:9], v[4:5], off
	v_cvt_f32_f64_e32 v4, v[14:15]
	v_add_u32_e32 v15, 0x800, v49
	v_mul_f64 v[12:13], v[2:3], s[0:1]
	ds_read2_b64 v[0:3], v15 offset0:14 offset1:68
	v_cvt_f32_f64_e32 v5, v[18:19]
	v_mov_b32_e32 v14, s3
	v_add_co_u32_e32 v8, vcc, s2, v8
	v_addc_co_u32_e32 v9, vcc, v9, v14, vcc
	global_store_dwordx2 v[8:9], v[4:5], off
	s_waitcnt vmcnt(9) lgkmcnt(0)
	v_mul_f32_e32 v4, v1, v25
	v_fmac_f32_e32 v4, v0, v24
	v_cvt_f64_f32_e32 v[4:5], v4
	v_mul_f32_e32 v0, v0, v25
	v_fma_f32 v0, v24, v1, -v0
	v_cvt_f64_f32_e32 v[0:1], v0
	v_mul_f64 v[4:5], v[4:5], s[0:1]
	v_cvt_f32_f64_e32 v10, v[10:11]
	v_cvt_f32_f64_e32 v11, v[12:13]
	v_mul_f64 v[0:1], v[0:1], s[0:1]
	v_mov_b32_e32 v12, s3
	v_add_co_u32_e32 v8, vcc, s2, v8
	v_addc_co_u32_e32 v9, vcc, v9, v12, vcc
	v_cvt_f32_f64_e32 v4, v[4:5]
	s_waitcnt vmcnt(8)
	v_mul_f32_e32 v5, v3, v27
	v_fmac_f32_e32 v5, v2, v26
	v_mul_f32_e32 v2, v2, v27
	v_fma_f32 v2, v26, v3, -v2
	v_cvt_f64_f32_e32 v[2:3], v2
	global_store_dwordx2 v[8:9], v[10:11], off
	v_cvt_f64_f32_e32 v[10:11], v5
	v_cvt_f32_f64_e32 v5, v[0:1]
	v_mul_f64 v[12:13], v[2:3], s[0:1]
	ds_read2_b64 v[0:3], v15 offset0:122 offset1:176
	v_add_co_u32_e32 v8, vcc, s2, v8
	v_addc_co_u32_e32 v9, vcc, v9, v14, vcc
	global_store_dwordx2 v[8:9], v[4:5], off
	s_waitcnt vmcnt(9) lgkmcnt(0)
	v_mul_f32_e32 v4, v1, v29
	v_fmac_f32_e32 v4, v0, v28
	v_cvt_f64_f32_e32 v[4:5], v4
	v_mul_f64 v[10:11], v[10:11], s[0:1]
	v_mul_f32_e32 v0, v0, v29
	v_fma_f32 v0, v28, v1, -v0
	v_mul_f64 v[4:5], v[4:5], s[0:1]
	v_cvt_f64_f32_e32 v[0:1], v0
	v_add_co_u32_e32 v8, vcc, s2, v8
	v_cvt_f32_f64_e32 v10, v[10:11]
	v_cvt_f32_f64_e32 v11, v[12:13]
	v_mul_f64 v[0:1], v[0:1], s[0:1]
	v_mov_b32_e32 v12, s3
	v_cvt_f32_f64_e32 v4, v[4:5]
	s_waitcnt vmcnt(8)
	v_mul_f32_e32 v5, v3, v31
	v_addc_co_u32_e32 v9, vcc, v9, v12, vcc
	v_fmac_f32_e32 v5, v2, v30
	global_store_dwordx2 v[8:9], v[10:11], off
	v_cvt_f64_f32_e32 v[10:11], v5
	v_mul_f32_e32 v2, v2, v31
	v_fma_f32 v2, v30, v3, -v2
	v_cvt_f64_f32_e32 v[2:3], v2
	v_mul_f64 v[10:11], v[10:11], s[0:1]
	v_cvt_f32_f64_e32 v5, v[0:1]
	v_mov_b32_e32 v0, s3
	v_add_co_u32_e32 v8, vcc, s2, v8
	v_addc_co_u32_e32 v9, vcc, v9, v0, vcc
	v_add_u32_e32 v0, 0xc00, v49
	v_mul_f64 v[12:13], v[2:3], s[0:1]
	ds_read2_b64 v[0:3], v0 offset0:102 offset1:156
	global_store_dwordx2 v[8:9], v[4:5], off
	v_cvt_f32_f64_e32 v4, v[10:11]
	s_waitcnt vmcnt(6) lgkmcnt(0)
	v_mul_f32_e32 v10, v1, v7
	v_fmac_f32_e32 v10, v0, v6
	v_mul_f32_e32 v0, v0, v7
	v_fma_f32 v0, v6, v1, -v0
	v_cvt_f32_f64_e32 v5, v[12:13]
	v_cvt_f64_f32_e32 v[10:11], v10
	v_cvt_f64_f32_e32 v[0:1], v0
	v_mov_b32_e32 v12, s3
	v_add_co_u32_e32 v6, vcc, s2, v8
	v_addc_co_u32_e32 v7, vcc, v9, v12, vcc
	global_store_dwordx2 v[6:7], v[4:5], off
	v_mul_f64 v[4:5], v[10:11], s[0:1]
	v_mul_f64 v[0:1], v[0:1], s[0:1]
	v_mul_f32_e32 v8, v3, v35
	v_fmac_f32_e32 v8, v2, v34
	v_mul_f32_e32 v2, v2, v35
	v_fma_f32 v2, v34, v3, -v2
	v_cvt_f64_f32_e32 v[8:9], v8
	v_cvt_f64_f32_e32 v[2:3], v2
	v_cvt_f32_f64_e32 v4, v[4:5]
	v_cvt_f32_f64_e32 v5, v[0:1]
	v_mul_f64 v[0:1], v[8:9], s[0:1]
	v_mul_f64 v[2:3], v[2:3], s[0:1]
	v_mov_b32_e32 v8, s3
	v_add_co_u32_e32 v6, vcc, s2, v6
	v_addc_co_u32_e32 v7, vcc, v7, v8, vcc
	global_store_dwordx2 v[6:7], v[4:5], off
	v_cvt_f32_f64_e32 v0, v[0:1]
	v_cvt_f32_f64_e32 v1, v[2:3]
	v_mov_b32_e32 v3, s3
	v_add_co_u32_e32 v2, vcc, s2, v6
	v_addc_co_u32_e32 v3, vcc, v7, v3, vcc
	global_store_dwordx2 v[2:3], v[0:1], off
.LBB0_15:
	s_endpgm
	.section	.rodata,"a",@progbits
	.p2align	6, 0x0
	.amdhsa_kernel bluestein_single_fwd_len594_dim1_sp_op_CI_CI
		.amdhsa_group_segment_fixed_size 4752
		.amdhsa_private_segment_fixed_size 0
		.amdhsa_kernarg_size 104
		.amdhsa_user_sgpr_count 6
		.amdhsa_user_sgpr_private_segment_buffer 1
		.amdhsa_user_sgpr_dispatch_ptr 0
		.amdhsa_user_sgpr_queue_ptr 0
		.amdhsa_user_sgpr_kernarg_segment_ptr 1
		.amdhsa_user_sgpr_dispatch_id 0
		.amdhsa_user_sgpr_flat_scratch_init 0
		.amdhsa_user_sgpr_private_segment_size 0
		.amdhsa_uses_dynamic_stack 0
		.amdhsa_system_sgpr_private_segment_wavefront_offset 0
		.amdhsa_system_sgpr_workgroup_id_x 1
		.amdhsa_system_sgpr_workgroup_id_y 0
		.amdhsa_system_sgpr_workgroup_id_z 0
		.amdhsa_system_sgpr_workgroup_info 0
		.amdhsa_system_vgpr_workitem_id 0
		.amdhsa_next_free_vgpr 127
		.amdhsa_next_free_sgpr 18
		.amdhsa_reserve_vcc 1
		.amdhsa_reserve_flat_scratch 0
		.amdhsa_float_round_mode_32 0
		.amdhsa_float_round_mode_16_64 0
		.amdhsa_float_denorm_mode_32 3
		.amdhsa_float_denorm_mode_16_64 3
		.amdhsa_dx10_clamp 1
		.amdhsa_ieee_mode 1
		.amdhsa_fp16_overflow 0
		.amdhsa_exception_fp_ieee_invalid_op 0
		.amdhsa_exception_fp_denorm_src 0
		.amdhsa_exception_fp_ieee_div_zero 0
		.amdhsa_exception_fp_ieee_overflow 0
		.amdhsa_exception_fp_ieee_underflow 0
		.amdhsa_exception_fp_ieee_inexact 0
		.amdhsa_exception_int_div_zero 0
	.end_amdhsa_kernel
	.text
.Lfunc_end0:
	.size	bluestein_single_fwd_len594_dim1_sp_op_CI_CI, .Lfunc_end0-bluestein_single_fwd_len594_dim1_sp_op_CI_CI
                                        ; -- End function
	.section	.AMDGPU.csdata,"",@progbits
; Kernel info:
; codeLenInByte = 9452
; NumSgprs: 22
; NumVgprs: 127
; ScratchSize: 0
; MemoryBound: 0
; FloatMode: 240
; IeeeMode: 1
; LDSByteSize: 4752 bytes/workgroup (compile time only)
; SGPRBlocks: 2
; VGPRBlocks: 31
; NumSGPRsForWavesPerEU: 22
; NumVGPRsForWavesPerEU: 127
; Occupancy: 2
; WaveLimiterHint : 1
; COMPUTE_PGM_RSRC2:SCRATCH_EN: 0
; COMPUTE_PGM_RSRC2:USER_SGPR: 6
; COMPUTE_PGM_RSRC2:TRAP_HANDLER: 0
; COMPUTE_PGM_RSRC2:TGID_X_EN: 1
; COMPUTE_PGM_RSRC2:TGID_Y_EN: 0
; COMPUTE_PGM_RSRC2:TGID_Z_EN: 0
; COMPUTE_PGM_RSRC2:TIDIG_COMP_CNT: 0
	.type	__hip_cuid_a416a0caafe06033,@object ; @__hip_cuid_a416a0caafe06033
	.section	.bss,"aw",@nobits
	.globl	__hip_cuid_a416a0caafe06033
__hip_cuid_a416a0caafe06033:
	.byte	0                               ; 0x0
	.size	__hip_cuid_a416a0caafe06033, 1

	.ident	"AMD clang version 19.0.0git (https://github.com/RadeonOpenCompute/llvm-project roc-6.4.0 25133 c7fe45cf4b819c5991fe208aaa96edf142730f1d)"
	.section	".note.GNU-stack","",@progbits
	.addrsig
	.addrsig_sym __hip_cuid_a416a0caafe06033
	.amdgpu_metadata
---
amdhsa.kernels:
  - .args:
      - .actual_access:  read_only
        .address_space:  global
        .offset:         0
        .size:           8
        .value_kind:     global_buffer
      - .actual_access:  read_only
        .address_space:  global
        .offset:         8
        .size:           8
        .value_kind:     global_buffer
      - .actual_access:  read_only
        .address_space:  global
        .offset:         16
        .size:           8
        .value_kind:     global_buffer
      - .actual_access:  read_only
        .address_space:  global
        .offset:         24
        .size:           8
        .value_kind:     global_buffer
      - .actual_access:  read_only
        .address_space:  global
        .offset:         32
        .size:           8
        .value_kind:     global_buffer
      - .offset:         40
        .size:           8
        .value_kind:     by_value
      - .address_space:  global
        .offset:         48
        .size:           8
        .value_kind:     global_buffer
      - .address_space:  global
        .offset:         56
        .size:           8
        .value_kind:     global_buffer
      - .address_space:  global
        .offset:         64
        .size:           8
        .value_kind:     global_buffer
      - .address_space:  global
        .offset:         72
        .size:           8
        .value_kind:     global_buffer
      - .offset:         80
        .size:           4
        .value_kind:     by_value
      - .address_space:  global
        .offset:         88
        .size:           8
        .value_kind:     global_buffer
      - .address_space:  global
        .offset:         96
        .size:           8
        .value_kind:     global_buffer
    .group_segment_fixed_size: 4752
    .kernarg_segment_align: 8
    .kernarg_segment_size: 104
    .language:       OpenCL C
    .language_version:
      - 2
      - 0
    .max_flat_workgroup_size: 99
    .name:           bluestein_single_fwd_len594_dim1_sp_op_CI_CI
    .private_segment_fixed_size: 0
    .sgpr_count:     22
    .sgpr_spill_count: 0
    .symbol:         bluestein_single_fwd_len594_dim1_sp_op_CI_CI.kd
    .uniform_work_group_size: 1
    .uses_dynamic_stack: false
    .vgpr_count:     127
    .vgpr_spill_count: 0
    .wavefront_size: 64
amdhsa.target:   amdgcn-amd-amdhsa--gfx906
amdhsa.version:
  - 1
  - 2
...

	.end_amdgpu_metadata
